;; amdgpu-corpus repo=ROCm/rocFFT kind=compiled arch=gfx1030 opt=O3
	.text
	.amdgcn_target "amdgcn-amd-amdhsa--gfx1030"
	.amdhsa_code_object_version 6
	.protected	fft_rtc_back_len715_factors_13_5_11_wgs_195_tpt_65_halfLds_dp_op_CI_CI_unitstride_sbrr_dirReg ; -- Begin function fft_rtc_back_len715_factors_13_5_11_wgs_195_tpt_65_halfLds_dp_op_CI_CI_unitstride_sbrr_dirReg
	.globl	fft_rtc_back_len715_factors_13_5_11_wgs_195_tpt_65_halfLds_dp_op_CI_CI_unitstride_sbrr_dirReg
	.p2align	8
	.type	fft_rtc_back_len715_factors_13_5_11_wgs_195_tpt_65_halfLds_dp_op_CI_CI_unitstride_sbrr_dirReg,@function
fft_rtc_back_len715_factors_13_5_11_wgs_195_tpt_65_halfLds_dp_op_CI_CI_unitstride_sbrr_dirReg: ; @fft_rtc_back_len715_factors_13_5_11_wgs_195_tpt_65_halfLds_dp_op_CI_CI_unitstride_sbrr_dirReg
; %bb.0:
	s_load_dwordx4 s[12:15], s[4:5], 0x0
	v_mul_u32_u24_e32 v1, 0x3f1, v0
	s_clause 0x1
	s_load_dwordx4 s[8:11], s[4:5], 0x58
	s_load_dwordx4 s[16:19], s[4:5], 0x18
	v_mov_b32_e32 v3, 0
	v_lshrrev_b32_e32 v4, 16, v1
	v_mov_b32_e32 v1, 0
	v_mov_b32_e32 v2, 0
	v_mad_u64_u32 v[58:59], null, s6, 3, v[4:5]
	v_mov_b32_e32 v59, v3
	v_mov_b32_e32 v79, v2
	;; [unrolled: 1-line block ×5, first 2 shown]
	s_waitcnt lgkmcnt(0)
	v_cmp_lt_u64_e64 s0, s[14:15], 2
	s_and_b32 vcc_lo, exec_lo, s0
	s_cbranch_vccnz .LBB0_8
; %bb.1:
	s_load_dwordx2 s[0:1], s[4:5], 0x10
	v_mov_b32_e32 v1, 0
	v_mov_b32_e32 v2, 0
	s_add_u32 s2, s18, 8
	v_mov_b32_e32 v5, v58
	s_addc_u32 s3, s19, 0
	v_mov_b32_e32 v6, v59
	v_mov_b32_e32 v79, v2
	s_add_u32 s6, s16, 8
	v_mov_b32_e32 v78, v1
	s_addc_u32 s7, s17, 0
	s_mov_b64 s[22:23], 1
	s_waitcnt lgkmcnt(0)
	s_add_u32 s20, s0, 8
	s_addc_u32 s21, s1, 0
.LBB0_2:                                ; =>This Inner Loop Header: Depth=1
	s_load_dwordx2 s[24:25], s[20:21], 0x0
                                        ; implicit-def: $vgpr81_vgpr82
	s_mov_b32 s0, exec_lo
	s_waitcnt lgkmcnt(0)
	v_or_b32_e32 v4, s25, v6
	v_cmpx_ne_u64_e32 0, v[3:4]
	s_xor_b32 s1, exec_lo, s0
	s_cbranch_execz .LBB0_4
; %bb.3:                                ;   in Loop: Header=BB0_2 Depth=1
	v_cvt_f32_u32_e32 v4, s24
	v_cvt_f32_u32_e32 v7, s25
	s_sub_u32 s0, 0, s24
	s_subb_u32 s26, 0, s25
	v_fmac_f32_e32 v4, 0x4f800000, v7
	v_rcp_f32_e32 v4, v4
	v_mul_f32_e32 v4, 0x5f7ffffc, v4
	v_mul_f32_e32 v7, 0x2f800000, v4
	v_trunc_f32_e32 v7, v7
	v_fmac_f32_e32 v4, 0xcf800000, v7
	v_cvt_u32_f32_e32 v7, v7
	v_cvt_u32_f32_e32 v4, v4
	v_mul_lo_u32 v8, s0, v7
	v_mul_hi_u32 v9, s0, v4
	v_mul_lo_u32 v10, s26, v4
	v_add_nc_u32_e32 v8, v9, v8
	v_mul_lo_u32 v9, s0, v4
	v_add_nc_u32_e32 v8, v8, v10
	v_mul_hi_u32 v10, v4, v9
	v_mul_lo_u32 v11, v4, v8
	v_mul_hi_u32 v12, v4, v8
	v_mul_hi_u32 v13, v7, v9
	v_mul_lo_u32 v9, v7, v9
	v_mul_hi_u32 v14, v7, v8
	v_mul_lo_u32 v8, v7, v8
	v_add_co_u32 v10, vcc_lo, v10, v11
	v_add_co_ci_u32_e32 v11, vcc_lo, 0, v12, vcc_lo
	v_add_co_u32 v9, vcc_lo, v10, v9
	v_add_co_ci_u32_e32 v9, vcc_lo, v11, v13, vcc_lo
	v_add_co_ci_u32_e32 v10, vcc_lo, 0, v14, vcc_lo
	v_add_co_u32 v8, vcc_lo, v9, v8
	v_add_co_ci_u32_e32 v9, vcc_lo, 0, v10, vcc_lo
	v_add_co_u32 v4, vcc_lo, v4, v8
	v_add_co_ci_u32_e32 v7, vcc_lo, v7, v9, vcc_lo
	v_mul_hi_u32 v8, s0, v4
	v_mul_lo_u32 v10, s26, v4
	v_mul_lo_u32 v9, s0, v7
	v_add_nc_u32_e32 v8, v8, v9
	v_mul_lo_u32 v9, s0, v4
	v_add_nc_u32_e32 v8, v8, v10
	v_mul_hi_u32 v10, v4, v9
	v_mul_lo_u32 v11, v4, v8
	v_mul_hi_u32 v12, v4, v8
	v_mul_hi_u32 v13, v7, v9
	v_mul_lo_u32 v9, v7, v9
	v_mul_hi_u32 v14, v7, v8
	v_mul_lo_u32 v8, v7, v8
	v_add_co_u32 v10, vcc_lo, v10, v11
	v_add_co_ci_u32_e32 v11, vcc_lo, 0, v12, vcc_lo
	v_add_co_u32 v9, vcc_lo, v10, v9
	v_add_co_ci_u32_e32 v9, vcc_lo, v11, v13, vcc_lo
	v_add_co_ci_u32_e32 v10, vcc_lo, 0, v14, vcc_lo
	v_add_co_u32 v8, vcc_lo, v9, v8
	v_add_co_ci_u32_e32 v9, vcc_lo, 0, v10, vcc_lo
	v_add_co_u32 v4, vcc_lo, v4, v8
	v_add_co_ci_u32_e32 v11, vcc_lo, v7, v9, vcc_lo
	v_mul_hi_u32 v13, v5, v4
	v_mad_u64_u32 v[9:10], null, v6, v4, 0
	v_mad_u64_u32 v[7:8], null, v5, v11, 0
	;; [unrolled: 1-line block ×3, first 2 shown]
	v_add_co_u32 v4, vcc_lo, v13, v7
	v_add_co_ci_u32_e32 v7, vcc_lo, 0, v8, vcc_lo
	v_add_co_u32 v4, vcc_lo, v4, v9
	v_add_co_ci_u32_e32 v4, vcc_lo, v7, v10, vcc_lo
	v_add_co_ci_u32_e32 v7, vcc_lo, 0, v12, vcc_lo
	v_add_co_u32 v4, vcc_lo, v4, v11
	v_add_co_ci_u32_e32 v9, vcc_lo, 0, v7, vcc_lo
	v_mul_lo_u32 v10, s25, v4
	v_mad_u64_u32 v[7:8], null, s24, v4, 0
	v_mul_lo_u32 v11, s24, v9
	v_sub_co_u32 v7, vcc_lo, v5, v7
	v_add3_u32 v8, v8, v11, v10
	v_sub_nc_u32_e32 v10, v6, v8
	v_subrev_co_ci_u32_e64 v10, s0, s25, v10, vcc_lo
	v_add_co_u32 v11, s0, v4, 2
	v_add_co_ci_u32_e64 v12, s0, 0, v9, s0
	v_sub_co_u32 v13, s0, v7, s24
	v_sub_co_ci_u32_e32 v8, vcc_lo, v6, v8, vcc_lo
	v_subrev_co_ci_u32_e64 v10, s0, 0, v10, s0
	v_cmp_le_u32_e32 vcc_lo, s24, v13
	v_cmp_eq_u32_e64 s0, s25, v8
	v_cndmask_b32_e64 v13, 0, -1, vcc_lo
	v_cmp_le_u32_e32 vcc_lo, s25, v10
	v_cndmask_b32_e64 v14, 0, -1, vcc_lo
	v_cmp_le_u32_e32 vcc_lo, s24, v7
	;; [unrolled: 2-line block ×3, first 2 shown]
	v_cndmask_b32_e64 v15, 0, -1, vcc_lo
	v_cmp_eq_u32_e32 vcc_lo, s25, v10
	v_cndmask_b32_e64 v7, v15, v7, s0
	v_cndmask_b32_e32 v10, v14, v13, vcc_lo
	v_add_co_u32 v13, vcc_lo, v4, 1
	v_add_co_ci_u32_e32 v14, vcc_lo, 0, v9, vcc_lo
	v_cmp_ne_u32_e32 vcc_lo, 0, v10
	v_cndmask_b32_e32 v8, v14, v12, vcc_lo
	v_cndmask_b32_e32 v10, v13, v11, vcc_lo
	v_cmp_ne_u32_e32 vcc_lo, 0, v7
	v_cndmask_b32_e32 v82, v9, v8, vcc_lo
	v_cndmask_b32_e32 v81, v4, v10, vcc_lo
.LBB0_4:                                ;   in Loop: Header=BB0_2 Depth=1
	s_andn2_saveexec_b32 s0, s1
	s_cbranch_execz .LBB0_6
; %bb.5:                                ;   in Loop: Header=BB0_2 Depth=1
	v_cvt_f32_u32_e32 v4, s24
	s_sub_i32 s1, 0, s24
	v_mov_b32_e32 v82, v3
	v_rcp_iflag_f32_e32 v4, v4
	v_mul_f32_e32 v4, 0x4f7ffffe, v4
	v_cvt_u32_f32_e32 v4, v4
	v_mul_lo_u32 v7, s1, v4
	v_mul_hi_u32 v7, v4, v7
	v_add_nc_u32_e32 v4, v4, v7
	v_mul_hi_u32 v4, v5, v4
	v_mul_lo_u32 v7, v4, s24
	v_add_nc_u32_e32 v8, 1, v4
	v_sub_nc_u32_e32 v7, v5, v7
	v_subrev_nc_u32_e32 v9, s24, v7
	v_cmp_le_u32_e32 vcc_lo, s24, v7
	v_cndmask_b32_e32 v7, v7, v9, vcc_lo
	v_cndmask_b32_e32 v4, v4, v8, vcc_lo
	v_cmp_le_u32_e32 vcc_lo, s24, v7
	v_add_nc_u32_e32 v8, 1, v4
	v_cndmask_b32_e32 v81, v4, v8, vcc_lo
.LBB0_6:                                ;   in Loop: Header=BB0_2 Depth=1
	s_or_b32 exec_lo, exec_lo, s0
	v_mul_lo_u32 v4, v82, s24
	v_mul_lo_u32 v9, v81, s25
	s_load_dwordx2 s[0:1], s[6:7], 0x0
	v_mad_u64_u32 v[7:8], null, v81, s24, 0
	s_load_dwordx2 s[24:25], s[2:3], 0x0
	s_add_u32 s22, s22, 1
	s_addc_u32 s23, s23, 0
	s_add_u32 s2, s2, 8
	s_addc_u32 s3, s3, 0
	s_add_u32 s6, s6, 8
	v_add3_u32 v4, v8, v9, v4
	v_sub_co_u32 v5, vcc_lo, v5, v7
	s_addc_u32 s7, s7, 0
	s_add_u32 s20, s20, 8
	v_sub_co_ci_u32_e32 v4, vcc_lo, v6, v4, vcc_lo
	s_addc_u32 s21, s21, 0
	s_waitcnt lgkmcnt(0)
	v_mul_lo_u32 v6, s0, v4
	v_mul_lo_u32 v7, s1, v5
	v_mad_u64_u32 v[1:2], null, s0, v5, v[1:2]
	v_mul_lo_u32 v4, s24, v4
	v_mul_lo_u32 v8, s25, v5
	v_mad_u64_u32 v[78:79], null, s24, v5, v[78:79]
	v_cmp_ge_u64_e64 s0, s[22:23], s[14:15]
	v_add3_u32 v2, v7, v2, v6
	v_add3_u32 v79, v8, v79, v4
	s_and_b32 vcc_lo, exec_lo, s0
	s_cbranch_vccnz .LBB0_8
; %bb.7:                                ;   in Loop: Header=BB0_2 Depth=1
	v_mov_b32_e32 v5, v81
	v_mov_b32_e32 v6, v82
	s_branch .LBB0_2
.LBB0_8:
	s_load_dwordx2 s[0:1], s[4:5], 0x28
	s_lshl_b64 s[4:5], s[14:15], 3
	v_mul_hi_u32 v3, 0x3f03f04, v0
	s_add_u32 s2, s18, s4
	s_addc_u32 s3, s19, s5
	v_mov_b32_e32 v80, 0
	s_load_dwordx2 s[2:3], s[2:3], 0x0
                                        ; implicit-def: $vgpr12_vgpr13
                                        ; implicit-def: $vgpr16_vgpr17
                                        ; implicit-def: $vgpr20_vgpr21
                                        ; implicit-def: $vgpr24_vgpr25
                                        ; implicit-def: $vgpr28_vgpr29
                                        ; implicit-def: $vgpr36_vgpr37
                                        ; implicit-def: $vgpr40_vgpr41
                                        ; implicit-def: $vgpr44_vgpr45
                                        ; implicit-def: $vgpr56_vgpr57
                                        ; implicit-def: $vgpr52_vgpr53
                                        ; implicit-def: $vgpr48_vgpr49
                                        ; implicit-def: $vgpr32_vgpr33
                                        ; implicit-def: $vgpr8_vgpr9
	v_mul_u32_u24_e32 v3, 0x41, v3
	v_sub_nc_u32_e32 v83, v0, v3
	s_waitcnt lgkmcnt(0)
	v_cmp_gt_u64_e32 vcc_lo, s[0:1], v[81:82]
	s_and_saveexec_b32 s1, vcc_lo
	s_cbranch_execz .LBB0_12
; %bb.9:
	s_mov_b32 s6, exec_lo
                                        ; implicit-def: $vgpr6_vgpr7
                                        ; implicit-def: $vgpr30_vgpr31
                                        ; implicit-def: $vgpr46_vgpr47
                                        ; implicit-def: $vgpr50_vgpr51
                                        ; implicit-def: $vgpr54_vgpr55
                                        ; implicit-def: $vgpr42_vgpr43
                                        ; implicit-def: $vgpr38_vgpr39
                                        ; implicit-def: $vgpr34_vgpr35
                                        ; implicit-def: $vgpr26_vgpr27
                                        ; implicit-def: $vgpr22_vgpr23
                                        ; implicit-def: $vgpr18_vgpr19
                                        ; implicit-def: $vgpr14_vgpr15
                                        ; implicit-def: $vgpr10_vgpr11
	v_cmpx_gt_u32_e32 55, v83
	s_cbranch_execz .LBB0_11
; %bb.10:
	s_add_u32 s4, s16, s4
	s_addc_u32 s5, s17, s5
	v_mov_b32_e32 v84, 0
	s_load_dwordx2 s[4:5], s[4:5], 0x0
	s_waitcnt lgkmcnt(0)
	v_mul_lo_u32 v0, s5, v81
	v_mul_lo_u32 v5, s4, v82
	v_mad_u64_u32 v[3:4], null, s4, v81, 0
	v_add3_u32 v4, v4, v5, v0
	v_lshlrev_b64 v[0:1], 4, v[1:2]
	v_lshlrev_b64 v[3:4], 4, v[3:4]
	v_add_co_u32 v5, s0, s8, v3
	v_add_co_ci_u32_e64 v4, s0, s9, v4, s0
	v_lshlrev_b64 v[2:3], 4, v[83:84]
	v_add_co_u32 v0, s0, v5, v0
	v_add_co_ci_u32_e64 v1, s0, v4, v1, s0
	v_add_co_u32 v0, s0, v0, v2
	v_add_co_ci_u32_e64 v1, s0, v1, v3, s0
	s_clause 0x1
	global_load_dwordx4 v[6:9], v[0:1], off
	global_load_dwordx4 v[30:33], v[0:1], off offset:880
	v_add_co_u32 v2, s0, 0x800, v0
	v_add_co_ci_u32_e64 v3, s0, 0, v1, s0
	v_add_co_u32 v4, s0, 0x1000, v0
	v_add_co_ci_u32_e64 v5, s0, 0, v1, s0
	;; [unrolled: 2-line block ×5, first 2 shown]
	s_clause 0xa
	global_load_dwordx4 v[46:49], v[0:1], off offset:1760
	global_load_dwordx4 v[50:53], v[2:3], off offset:592
	;; [unrolled: 1-line block ×11, first 2 shown]
.LBB0_11:
	s_or_b32 exec_lo, exec_lo, s6
	v_mov_b32_e32 v80, v83
.LBB0_12:
	s_or_b32 exec_lo, exec_lo, s1
	s_waitcnt vmcnt(0)
	v_add_f64 v[59:60], v[32:33], -v[12:13]
	s_mov_b32 s4, 0x42a4c3d2
	s_mov_b32 s6, 0x66966769
	;; [unrolled: 1-line block ×6, first 2 shown]
	v_add_f64 v[61:62], v[10:11], v[30:31]
	v_add_f64 v[63:64], v[48:49], -v[16:17]
	s_mov_b32 s24, 0x1ea71119
	s_mov_b32 s14, 0x2ef20147
	;; [unrolled: 1-line block ×10, first 2 shown]
	v_add_f64 v[118:119], v[14:15], v[46:47]
	v_add_f64 v[100:101], v[52:53], -v[20:21]
	s_mov_b32 s34, 0xb2365da1
	v_mul_f64 v[84:85], v[59:60], s[4:5]
	v_mul_f64 v[88:89], v[59:60], s[6:7]
	;; [unrolled: 1-line block ×3, first 2 shown]
	s_mov_b32 s22, 0x93053d00
	s_mov_b32 s35, 0xbfd6b1d8
	;; [unrolled: 1-line block ×5, first 2 shown]
	v_mul_f64 v[110:111], v[63:64], s[14:15]
	v_mul_f64 v[112:113], v[63:64], s[18:19]
	;; [unrolled: 1-line block ×3, first 2 shown]
	v_add_f64 v[122:123], v[18:19], v[50:51]
	v_add_f64 v[69:70], v[56:57], -v[24:25]
	s_mov_b32 s38, 0x24c2f84
	s_mov_b32 s39, 0x3fe5384d
	;; [unrolled: 1-line block ×4, first 2 shown]
	v_add_f64 v[124:125], v[22:23], v[54:55]
	v_add_f64 v[67:68], v[44:45], -v[28:29]
	s_mov_b32 s36, 0xd0032e0c
	v_mul_f64 v[104:105], v[100:101], s[18:19]
	v_mul_f64 v[106:107], v[100:101], s[16:17]
	v_fma_f64 v[0:1], v[61:62], s[24:25], -v[84:85]
	v_fma_f64 v[2:3], v[61:62], s[30:31], -v[88:89]
	;; [unrolled: 1-line block ×3, first 2 shown]
	v_mul_f64 v[108:109], v[100:101], s[6:7]
	s_mov_b32 s37, 0xbfe7f3cc
	s_mov_b32 s27, 0x3fefc445
	;; [unrolled: 1-line block ×4, first 2 shown]
	v_fma_f64 v[65:66], v[118:119], s[34:35], -v[110:111]
	v_fma_f64 v[71:72], v[118:119], s[22:23], -v[112:113]
	;; [unrolled: 1-line block ×3, first 2 shown]
	s_mov_b32 s40, s38
	v_mul_f64 v[94:95], v[69:70], s[38:39]
	v_mul_f64 v[96:97], v[69:70], s[28:29]
	;; [unrolled: 1-line block ×3, first 2 shown]
	v_add_f64 v[120:121], v[26:27], v[42:43]
	v_cmp_gt_u32_e64 s1, 55, v83
	v_mul_f64 v[86:87], v[67:68], s[26:27]
	v_mul_f64 v[90:91], v[67:68], s[4:5]
	v_fma_f64 v[75:76], v[122:123], s[22:23], -v[104:105]
	v_fma_f64 v[102:103], v[122:123], s[34:35], -v[106:107]
	v_add_f64 v[0:1], v[6:7], v[0:1]
	v_add_f64 v[2:3], v[6:7], v[2:3]
	;; [unrolled: 1-line block ×3, first 2 shown]
	v_fma_f64 v[126:127], v[122:123], s[30:31], -v[108:109]
	v_mul_f64 v[92:93], v[67:68], s[40:41]
	v_fma_f64 v[128:129], v[124:125], s[36:37], -v[94:95]
	v_fma_f64 v[130:131], v[124:125], s[20:21], -v[96:97]
	;; [unrolled: 1-line block ×4, first 2 shown]
	v_add_f64 v[0:1], v[65:66], v[0:1]
	v_add_f64 v[2:3], v[71:72], v[2:3]
	;; [unrolled: 1-line block ×3, first 2 shown]
	v_add_f64 v[65:66], v[40:41], -v[36:37]
	v_fma_f64 v[136:137], v[120:121], s[36:37], -v[92:93]
	v_add_f64 v[0:1], v[75:76], v[0:1]
	v_add_f64 v[2:3], v[102:103], v[2:3]
	;; [unrolled: 1-line block ×4, first 2 shown]
	v_mul_f64 v[71:72], v[65:66], s[28:29]
	v_mul_f64 v[73:74], v[65:66], s[40:41]
	;; [unrolled: 1-line block ×3, first 2 shown]
	v_fma_f64 v[126:127], v[120:121], s[30:31], -v[86:87]
	v_add_f64 v[0:1], v[128:129], v[0:1]
	v_add_f64 v[2:3], v[130:131], v[2:3]
	;; [unrolled: 1-line block ×3, first 2 shown]
	v_fma_f64 v[128:129], v[102:103], s[20:21], -v[71:72]
	v_fma_f64 v[130:131], v[102:103], s[36:37], -v[73:74]
	v_fma_f64 v[132:133], v[102:103], s[22:23], -v[75:76]
	v_add_f64 v[0:1], v[126:127], v[0:1]
	v_add_f64 v[126:127], v[134:135], v[2:3]
	v_add_f64 v[4:5], v[136:137], v[4:5]
	v_mul_hi_u32 v2, 0xaaaaaaab, v58
	v_lshrrev_b32_e32 v77, 1, v2
	v_lshl_add_u32 v77, v77, 1, v77
	v_sub_nc_u32_e32 v58, v58, v77
	v_add_f64 v[2:3], v[128:129], v[0:1]
	v_add_f64 v[0:1], v[130:131], v[126:127]
	;; [unrolled: 1-line block ×3, first 2 shown]
	v_mul_u32_u24_e32 v58, 0x2cb, v58
	v_lshlrev_b32_e32 v128, 3, v58
	s_and_saveexec_b32 s0, s1
	s_cbranch_execz .LBB0_14
; %bb.13:
	v_add_f64 v[126:127], v[30:31], v[6:7]
	v_mul_f64 v[139:140], v[61:62], s[22:23]
	v_mul_f64 v[143:144], v[61:62], s[30:31]
	;; [unrolled: 1-line block ×6, first 2 shown]
	s_mov_b32 s45, 0x3fcea1e5
	s_mov_b32 s44, s18
	v_mul_f64 v[151:152], v[118:119], s[20:21]
	v_mul_f64 v[153:154], v[118:119], s[30:31]
	;; [unrolled: 1-line block ×12, first 2 shown]
	s_mov_b32 s43, 0x3fea55e2
	v_add_f64 v[126:127], v[46:47], v[126:127]
	v_fma_f64 v[169:170], v[59:60], s[44:45], v[139:140]
	v_add_f64 v[88:89], v[88:89], v[143:144]
	v_add_f64 v[84:85], v[84:85], v[145:146]
	v_fma_f64 v[139:140], v[59:60], s[18:19], v[139:140]
	v_fma_f64 v[171:172], v[59:60], s[38:39], v[141:142]
	;; [unrolled: 1-line block ×5, first 2 shown]
	v_add_f64 v[60:61], v[116:117], v[61:62]
	v_fma_f64 v[173:174], v[63:64], s[8:9], v[151:152]
	v_fma_f64 v[151:152], v[63:64], s[28:29], v[151:152]
	v_add_f64 v[112:113], v[112:113], v[161:162]
	v_add_f64 v[110:111], v[110:111], v[167:168]
	;; [unrolled: 1-line block ×3, first 2 shown]
	v_fma_f64 v[175:176], v[63:64], s[6:7], v[153:154]
	v_fma_f64 v[153:154], v[63:64], s[26:27], v[153:154]
	;; [unrolled: 1-line block ×4, first 2 shown]
	s_mov_b32 s42, s4
	v_mul_f64 v[129:130], v[124:125], s[24:25]
	v_mul_f64 v[157:158], v[124:125], s[20:21]
	v_add_f64 v[126:127], v[50:51], v[126:127]
	v_add_f64 v[118:119], v[6:7], v[169:170]
	;; [unrolled: 1-line block ×10, first 2 shown]
	v_mul_f64 v[163:164], v[124:125], s[36:37]
	v_fma_f64 v[167:168], v[100:101], s[38:39], v[135:136]
	v_add_f64 v[106:107], v[106:107], v[159:160]
	v_add_f64 v[104:105], v[104:105], v[165:166]
	v_mul_f64 v[131:132], v[124:125], s[22:23]
	v_mul_f64 v[133:134], v[124:125], s[30:31]
	v_fma_f64 v[135:136], v[100:101], s[40:41], v[135:136]
	v_fma_f64 v[169:170], v[100:101], s[42:43], v[137:138]
	;; [unrolled: 1-line block ×5, first 2 shown]
	v_add_f64 v[108:109], v[108:109], v[122:123]
	v_add_f64 v[126:127], v[54:55], v[126:127]
	;; [unrolled: 1-line block ×6, first 2 shown]
	v_mul_f64 v[124:125], v[124:125], s[34:35]
	v_add_f64 v[141:142], v[153:154], v[141:142]
	v_add_f64 v[62:63], v[62:63], v[143:144]
	;; [unrolled: 1-line block ×5, first 2 shown]
	v_mul_f64 v[161:162], v[120:121], s[30:31]
	v_fma_f64 v[143:144], v[69:70], s[4:5], v[129:130]
	v_add_f64 v[96:97], v[96:97], v[157:158]
	v_add_f64 v[94:95], v[94:95], v[163:164]
	v_mul_f64 v[145:146], v[120:121], s[20:21]
	v_mul_f64 v[147:148], v[120:121], s[22:23]
	v_fma_f64 v[129:130], v[69:70], s[42:43], v[129:130]
	v_fma_f64 v[149:150], v[69:70], s[18:19], v[131:132]
	;; [unrolled: 1-line block ×5, first 2 shown]
	v_add_f64 v[126:127], v[42:43], v[126:127]
	v_add_f64 v[118:119], v[167:168], v[118:119]
	;; [unrolled: 1-line block ×11, first 2 shown]
	v_mul_f64 v[110:111], v[102:103], s[30:31]
	v_mul_f64 v[100:101], v[102:103], s[36:37]
	;; [unrolled: 1-line block ×3, first 2 shown]
	v_add_f64 v[86:87], v[86:87], v[161:162]
	v_mul_f64 v[112:113], v[102:103], s[34:35]
	v_mul_f64 v[114:115], v[102:103], s[24:25]
	v_fma_f64 v[135:136], v[67:68], s[28:29], v[145:146]
	v_fma_f64 v[137:138], v[67:68], s[18:19], v[147:148]
	v_mul_f64 v[102:103], v[102:103], s[22:23]
	v_add_f64 v[116:117], v[38:39], v[126:127]
	v_mul_f64 v[126:127], v[120:121], s[34:35]
	v_add_f64 v[88:89], v[96:97], v[88:89]
	v_add_f64 v[84:85], v[94:95], v[84:85]
	;; [unrolled: 1-line block ×5, first 2 shown]
	v_fma_f64 v[69:70], v[65:66], s[6:7], v[110:111]
	v_add_f64 v[73:74], v[73:74], v[100:101]
	v_add_f64 v[71:72], v[71:72], v[104:105]
	v_fma_f64 v[94:95], v[65:66], s[26:27], v[110:111]
	v_fma_f64 v[96:97], v[65:66], s[16:17], v[112:113]
	;; [unrolled: 1-line block ×5, first 2 shown]
	v_add_f64 v[75:76], v[75:76], v[102:103]
	v_add_f64 v[60:61], v[34:35], v[116:117]
	v_mul_f64 v[116:117], v[120:121], s[24:25]
	v_mul_f64 v[120:121], v[120:121], s[36:37]
	v_fma_f64 v[106:107], v[67:68], s[16:17], v[126:127]
	v_fma_f64 v[108:109], v[67:68], s[14:15], v[126:127]
	;; [unrolled: 1-line block ×4, first 2 shown]
	v_add_f64 v[84:85], v[86:87], v[84:85]
	v_add_f64 v[58:59], v[137:138], v[58:59]
	;; [unrolled: 1-line block ×19, first 2 shown]
	v_mul_u32_u24_e32 v64, 0x68, v83
	v_add3_u32 v64, 0, v64, v128
	v_add_f64 v[60:61], v[18:19], v[60:61]
	v_add_f64 v[73:74], v[73:74], v[88:89]
	;; [unrolled: 1-line block ×10, first 2 shown]
	ds_write2_b64 v64, v[0:1], v[2:3] offset0:10 offset1:11
	ds_write2_b64 v64, v[70:71], v[73:74] offset0:2 offset1:3
	;; [unrolled: 1-line block ×5, first 2 shown]
	ds_write2_b64 v64, v[60:61], v[6:7] offset1:1
	ds_write_b64 v64, v[4:5] offset:96
.LBB0_14:
	s_or_b32 exec_lo, exec_lo, s0
	v_lshlrev_b32_e32 v58, 3, v83
	s_waitcnt lgkmcnt(0)
	s_barrier
	buffer_gl0_inv
	v_cmp_gt_u32_e64 s0, 13, v83
	v_add_nc_u32_e32 v131, 0, v58
	v_add3_u32 v129, 0, v128, v58
                                        ; implicit-def: $vgpr84_vgpr85
	v_add_nc_u32_e32 v130, v131, v128
	v_add_nc_u32_e32 v6, 0x400, v130
	;; [unrolled: 1-line block ×4, first 2 shown]
	ds_read2_b64 v[62:65], v130 offset0:65 offset1:143
	ds_read2_b64 v[66:69], v6 offset0:80 offset1:158
	;; [unrolled: 1-line block ×4, first 2 shown]
	ds_read_b64 v[86:87], v129
	ds_read_b64 v[88:89], v130 offset:5096
	s_and_saveexec_b32 s4, s0
	s_cbranch_execz .LBB0_16
; %bb.15:
	ds_read2_b64 v[0:3], v6 offset0:2 offset1:145
	ds_read2_b64 v[4:7], v7 offset0:32 offset1:175
	ds_read_b64 v[84:85], v130 offset:5616
.LBB0_16:
	s_or_b32 exec_lo, exec_lo, s4
	v_add_f64 v[116:117], v[30:31], -v[10:11]
	s_mov_b32 s28, 0x66966769
	s_mov_b32 s21, 0xbfddbe06
	;; [unrolled: 1-line block ×6, first 2 shown]
	v_add_f64 v[30:31], v[12:13], v[32:33]
	v_add_f64 v[124:125], v[46:47], -v[14:15]
	s_mov_b32 s14, 0xe00740e9
	s_mov_b32 s4, 0x1ea71119
	;; [unrolled: 1-line block ×10, first 2 shown]
	v_add_f64 v[46:47], v[16:17], v[48:49]
	v_add_f64 v[126:127], v[50:51], -v[18:19]
	s_mov_b32 s16, 0xb2365da1
	v_mul_f64 v[102:103], v[116:117], s[20:21]
	v_mul_f64 v[104:105], v[116:117], s[8:9]
	;; [unrolled: 1-line block ×3, first 2 shown]
	s_mov_b32 s17, 0xbfd6b1d8
	s_mov_b32 s27, 0x3fedeba7
	;; [unrolled: 1-line block ×3, first 2 shown]
	v_add_f64 v[92:93], v[20:21], v[52:53]
	v_add_f64 v[108:109], v[54:55], -v[22:23]
	v_mul_f64 v[118:119], v[124:125], s[8:9]
	v_mul_f64 v[120:121], v[124:125], s[18:19]
	;; [unrolled: 1-line block ×3, first 2 shown]
	s_mov_b32 s36, 0x24c2f84
	s_mov_b32 s37, 0x3fe5384d
	;; [unrolled: 1-line block ×3, first 2 shown]
	v_add_f64 v[22:23], v[24:25], v[56:57]
	v_add_f64 v[96:97], v[42:43], -v[26:27]
	s_mov_b32 s30, 0xd0032e0c
	s_mov_b32 s31, 0xbfe7f3cc
	;; [unrolled: 1-line block ×4, first 2 shown]
	v_mul_f64 v[110:111], v[126:127], s[28:29]
	v_mul_f64 v[112:113], v[126:127], s[24:25]
	v_fma_f64 v[10:11], v[30:31], s[14:15], v[102:103]
	v_fma_f64 v[14:15], v[30:31], s[4:5], v[104:105]
	;; [unrolled: 1-line block ×3, first 2 shown]
	v_mul_f64 v[114:115], v[126:127], s[26:27]
	s_mov_b32 s27, 0x3fefc445
	s_mov_b32 s26, s28
	v_add_f64 v[42:43], v[38:39], -v[34:35]
	v_mul_f64 v[94:95], v[108:109], s[18:19]
	v_fma_f64 v[50:51], v[46:47], s[4:5], v[118:119]
	v_fma_f64 v[54:55], v[46:47], s[16:17], v[120:121]
	;; [unrolled: 1-line block ×3, first 2 shown]
	v_mul_f64 v[98:99], v[108:109], s[36:37]
	v_mul_f64 v[100:101], v[108:109], s[20:21]
	s_waitcnt lgkmcnt(0)
	s_barrier
	v_mul_f64 v[90:91], v[96:97], s[8:9]
	buffer_gl0_inv
	v_fma_f64 v[26:27], v[92:93], s[6:7], v[110:111]
	v_fma_f64 v[60:61], v[92:93], s[22:23], v[112:113]
	v_add_f64 v[10:11], v[8:9], v[10:11]
	v_add_f64 v[14:15], v[8:9], v[14:15]
	;; [unrolled: 1-line block ×3, first 2 shown]
	v_fma_f64 v[132:133], v[92:93], s[16:17], v[114:115]
	v_mul_f64 v[34:35], v[42:43], s[34:35]
	v_mul_f64 v[38:39], v[42:43], s[20:21]
	v_fma_f64 v[136:137], v[22:23], s[30:31], v[98:99]
	v_fma_f64 v[138:139], v[22:23], s[14:15], v[100:101]
	v_add_f64 v[10:11], v[50:51], v[10:11]
	v_add_f64 v[134:135], v[54:55], v[14:15]
	;; [unrolled: 1-line block ×4, first 2 shown]
	v_mul_f64 v[50:51], v[96:97], s[34:35]
	v_mul_f64 v[54:55], v[96:97], s[26:27]
	v_fma_f64 v[58:59], v[22:23], s[16:17], v[94:95]
	v_add_f64 v[10:11], v[26:27], v[10:11]
	v_add_f64 v[60:61], v[60:61], v[134:135]
	;; [unrolled: 1-line block ×4, first 2 shown]
	v_mul_f64 v[26:27], v[42:43], s[24:25]
	v_fma_f64 v[134:135], v[14:15], s[30:31], v[50:51]
	v_fma_f64 v[140:141], v[14:15], s[6:7], v[54:55]
	;; [unrolled: 1-line block ×3, first 2 shown]
	v_add_f64 v[10:11], v[58:59], v[10:11]
	v_add_f64 v[58:59], v[136:137], v[60:61]
	;; [unrolled: 1-line block ×3, first 2 shown]
	v_fma_f64 v[136:137], v[18:19], s[30:31], v[34:35]
	v_fma_f64 v[132:133], v[18:19], s[22:23], v[26:27]
	;; [unrolled: 1-line block ×3, first 2 shown]
	v_add_f64 v[10:11], v[134:135], v[10:11]
	v_add_f64 v[58:59], v[140:141], v[58:59]
	;; [unrolled: 1-line block ×6, first 2 shown]
	s_and_saveexec_b32 s33, s1
	s_cbranch_execz .LBB0_18
; %bb.17:
	v_add_f64 v[32:33], v[32:33], v[8:9]
	v_mul_f64 v[142:143], v[116:117], s[18:19]
	v_mul_f64 v[146:147], v[116:117], s[34:35]
	;; [unrolled: 1-line block ×14, first 2 shown]
	s_mov_b32 s25, 0x3fcea1e5
	s_mov_b32 s9, 0x3fea55e2
	v_mul_f64 v[148:149], v[22:23], s[16:17]
	v_mul_f64 v[150:151], v[22:23], s[30:31]
	;; [unrolled: 1-line block ×5, first 2 shown]
	v_add_f64 v[32:33], v[48:49], v[32:33]
	v_mul_f64 v[48:49], v[30:31], s[14:15]
	v_mul_f64 v[158:159], v[18:19], s[22:23]
	;; [unrolled: 1-line block ×3, first 2 shown]
	v_add_f64 v[118:119], v[132:133], -v[118:119]
	v_add_f64 v[120:121], v[134:135], -v[120:121]
	;; [unrolled: 1-line block ×3, first 2 shown]
	v_fma_f64 v[132:133], v[46:47], s[30:31], -v[162:163]
	v_fma_f64 v[134:135], v[46:47], s[30:31], v[162:163]
	v_fma_f64 v[136:137], v[46:47], s[6:7], -v[166:167]
	v_fma_f64 v[162:163], v[46:47], s[14:15], -v[124:125]
	v_mul_f64 v[164:165], v[18:19], s[30:31]
	v_add_f64 v[94:95], v[148:149], -v[94:95]
	v_add_f64 v[98:99], v[150:151], -v[98:99]
	;; [unrolled: 1-line block ×5, first 2 shown]
	v_add_f64 v[32:33], v[52:53], v[32:33]
	v_mul_f64 v[52:53], v[30:31], s[4:5]
	v_add_f64 v[48:49], v[48:49], -v[102:103]
	v_fma_f64 v[102:103], v[30:31], s[16:17], -v[142:143]
	v_add_f64 v[32:33], v[56:57], v[32:33]
	v_mul_f64 v[56:57], v[30:31], s[6:7]
	v_add_f64 v[52:53], v[52:53], -v[104:105]
	v_fma_f64 v[104:105], v[30:31], s[16:17], v[142:143]
	v_fma_f64 v[142:143], v[30:31], s[22:23], -v[116:117]
	v_fma_f64 v[116:117], v[30:31], s[22:23], v[116:117]
	v_add_f64 v[48:49], v[8:9], v[48:49]
	v_add_f64 v[102:103], v[8:9], v[102:103]
	;; [unrolled: 1-line block ×3, first 2 shown]
	v_add_f64 v[56:57], v[56:57], -v[106:107]
	v_fma_f64 v[106:107], v[30:31], s[30:31], -v[146:147]
	v_fma_f64 v[30:31], v[30:31], s[30:31], v[146:147]
	v_add_f64 v[52:53], v[8:9], v[52:53]
	v_add_f64 v[104:105], v[8:9], v[104:105]
	v_fma_f64 v[146:147], v[46:47], s[6:7], v[166:167]
	v_fma_f64 v[46:47], v[46:47], s[14:15], v[124:125]
	v_add_f64 v[124:125], v[8:9], v[142:143]
	v_add_f64 v[116:117], v[8:9], v[116:117]
	v_mul_f64 v[44:45], v[22:23], s[14:15]
	v_add_f64 v[48:49], v[118:119], v[48:49]
	v_fma_f64 v[142:143], v[92:93], s[4:5], v[170:171]
	v_add_f64 v[32:33], v[40:41], v[32:33]
	v_add_f64 v[56:57], v[8:9], v[56:57]
	v_mul_f64 v[40:41], v[126:127], s[34:35]
	v_add_f64 v[106:107], v[8:9], v[106:107]
	v_add_f64 v[8:9], v[8:9], v[30:31]
	v_mul_f64 v[126:127], v[108:109], s[28:29]
	v_add_f64 v[52:53], v[120:121], v[52:53]
	v_add_f64 v[46:47], v[46:47], v[116:117]
	v_add_f64 v[44:45], v[44:45], -v[100:101]
	v_mul_f64 v[116:117], v[96:97], s[18:19]
	v_add_f64 v[30:31], v[36:37], v[32:33]
	v_mul_f64 v[32:33], v[108:109], s[24:25]
	v_mul_f64 v[36:37], v[108:109], s[8:9]
	v_add_f64 v[108:109], v[138:139], -v[110:111]
	v_add_f64 v[110:111], v[140:141], -v[112:113]
	;; [unrolled: 1-line block ×3, first 2 shown]
	v_add_f64 v[56:57], v[122:123], v[56:57]
	v_fma_f64 v[114:115], v[92:93], s[14:15], -v[168:169]
	v_fma_f64 v[138:139], v[92:93], s[14:15], v[168:169]
	v_fma_f64 v[140:141], v[92:93], s[4:5], -v[170:171]
	v_fma_f64 v[144:145], v[92:93], s[30:31], -v[40:41]
	v_fma_f64 v[40:41], v[92:93], s[30:31], v[40:41]
	v_add_f64 v[92:93], v[132:133], v[102:103]
	v_add_f64 v[102:103], v[134:135], v[104:105]
	;; [unrolled: 1-line block ×5, first 2 shown]
	v_fma_f64 v[100:101], v[22:23], s[6:7], -v[126:127]
	v_fma_f64 v[118:119], v[22:23], s[6:7], v[126:127]
	v_add_f64 v[28:29], v[28:29], v[30:31]
	v_fma_f64 v[120:121], v[22:23], s[22:23], -v[32:33]
	v_fma_f64 v[32:33], v[22:23], s[22:23], v[32:33]
	v_fma_f64 v[122:123], v[22:23], s[4:5], -v[36:37]
	v_fma_f64 v[22:23], v[22:23], s[4:5], v[36:37]
	v_add_f64 v[36:37], v[108:109], v[48:49]
	v_add_f64 v[48:49], v[110:111], v[52:53]
	;; [unrolled: 1-line block ×3, first 2 shown]
	v_mul_f64 v[30:31], v[96:97], s[20:21]
	v_mul_f64 v[96:97], v[96:97], s[24:25]
	v_fma_f64 v[108:109], v[14:15], s[16:17], -v[116:117]
	v_add_f64 v[40:41], v[40:41], v[46:47]
	v_add_f64 v[56:57], v[114:115], v[92:93]
	;; [unrolled: 1-line block ×6, first 2 shown]
	v_mul_f64 v[46:47], v[42:43], s[26:27]
	v_fma_f64 v[110:111], v[14:15], s[16:17], v[116:117]
	v_add_f64 v[24:25], v[24:25], v[28:29]
	v_mul_f64 v[28:29], v[42:43], s[18:19]
	v_mul_f64 v[42:43], v[42:43], s[8:9]
	v_add_f64 v[36:37], v[94:95], v[36:37]
	v_add_f64 v[48:49], v[98:99], v[48:49]
	;; [unrolled: 1-line block ×3, first 2 shown]
	v_fma_f64 v[106:107], v[14:15], s[14:15], -v[30:31]
	v_fma_f64 v[30:31], v[14:15], s[14:15], v[30:31]
	v_fma_f64 v[112:113], v[14:15], s[22:23], -v[96:97]
	v_fma_f64 v[14:15], v[14:15], s[22:23], v[96:97]
	v_add_f64 v[52:53], v[100:101], v[56:57]
	v_add_f64 v[56:57], v[118:119], v[92:93]
	;; [unrolled: 1-line block ×6, first 2 shown]
	v_add_f64 v[32:33], v[164:165], -v[34:35]
	v_fma_f64 v[40:41], v[18:19], s[6:7], v[46:47]
	v_add_f64 v[20:21], v[20:21], v[24:25]
	v_add_f64 v[24:25], v[158:159], -v[26:27]
	v_add_f64 v[26:27], v[160:161], -v[38:39]
	v_fma_f64 v[34:35], v[18:19], s[16:17], -v[28:29]
	v_fma_f64 v[28:29], v[18:19], s[16:17], v[28:29]
	v_fma_f64 v[38:39], v[18:19], s[6:7], -v[46:47]
	v_fma_f64 v[46:47], v[18:19], s[4:5], -v[42:43]
	v_fma_f64 v[18:19], v[18:19], s[4:5], v[42:43]
	v_add_f64 v[36:37], v[50:51], v[36:37]
	v_add_f64 v[42:43], v[54:55], v[48:49]
	v_add_f64 v[44:45], v[90:91], v[44:45]
	v_add_f64 v[48:49], v[112:113], v[52:53]
	v_add_f64 v[14:15], v[14:15], v[56:57]
	v_add_f64 v[50:51], v[106:107], v[92:93]
	v_add_f64 v[52:53], v[108:109], v[94:95]
	v_add_f64 v[22:23], v[110:111], v[22:23]
	v_add_f64 v[8:9], v[30:31], v[8:9]
	v_add_f64 v[16:17], v[16:17], v[20:21]
	v_add_f64 v[20:21], v[24:25], v[36:37]
	v_add_f64 v[24:25], v[26:27], v[42:43]
	v_add_f64 v[26:27], v[32:33], v[44:45]
	v_add_f64 v[30:31], v[46:47], v[48:49]
	v_add_f64 v[14:15], v[18:19], v[14:15]
	v_add_f64 v[18:19], v[34:35], v[50:51]
	v_add_f64 v[32:33], v[38:39], v[52:53]
	v_add_f64 v[22:23], v[40:41], v[22:23]
	v_add_f64 v[8:9], v[28:29], v[8:9]
	v_add_f64 v[12:13], v[12:13], v[16:17]
	v_mul_u32_u24_e32 v16, 0x60, v83
	v_add3_u32 v16, v131, v16, v128
	ds_write2_b64 v16, v[58:59], v[60:61] offset0:10 offset1:11
	ds_write2_b64 v16, v[24:25], v[26:27] offset0:2 offset1:3
	;; [unrolled: 1-line block ×5, first 2 shown]
	ds_write2_b64 v16, v[12:13], v[20:21] offset1:1
	ds_write_b64 v16, v[10:11] offset:96
.LBB0_18:
	s_or_b32 exec_lo, exec_lo, s33
	v_add_nc_u32_e32 v12, 0x400, v130
	v_add_nc_u32_e32 v8, 0x800, v130
	;; [unrolled: 1-line block ×3, first 2 shown]
	s_waitcnt lgkmcnt(0)
	s_barrier
	buffer_gl0_inv
	ds_read2_b64 v[14:17], v130 offset0:65 offset1:143
	ds_read2_b64 v[22:25], v12 offset0:80 offset1:158
	;; [unrolled: 1-line block ×4, first 2 shown]
	ds_read_b64 v[8:9], v129
	ds_read_b64 v[50:51], v130 offset:5096
                                        ; implicit-def: $vgpr30_vgpr31
	s_and_saveexec_b32 s1, s0
	s_cbranch_execz .LBB0_20
; %bb.19:
	ds_read2_b64 v[58:61], v12 offset0:2 offset1:145
	ds_read2_b64 v[10:13], v13 offset0:32 offset1:175
	ds_read_b64 v[30:31], v130 offset:5616
.LBB0_20:
	s_or_b32 exec_lo, exec_lo, s1
	v_add_nc_u16 v32, v83, 0x41
	v_and_b32_e32 v33, 0xff, v83
	v_mov_b32_e32 v36, 6
	s_mov_b32 s8, 0x134454ff
	s_mov_b32 s9, 0xbfee6f0e
	v_and_b32_e32 v34, 0xff, v32
	v_mul_lo_u16 v33, 0x4f, v33
	s_mov_b32 s15, 0x3fee6f0e
	s_mov_b32 s14, s8
	s_mov_b32 s4, 0x4755a5e
	v_mul_lo_u16 v34, 0x4f, v34
	v_lshrrev_b16 v127, 10, v33
	s_mov_b32 s5, 0xbfe2cf23
	s_mov_b32 s7, 0x3fe2cf23
	;; [unrolled: 1-line block ×3, first 2 shown]
	v_lshrrev_b16 v141, 10, v34
	v_mul_lo_u16 v33, v127, 13
	s_mov_b32 s16, 0x372fe950
	s_mov_b32 s17, 0x3fd3c6ef
	v_mul_lo_u16 v34, v141, 13
	v_sub_nc_u16 v142, v83, v33
	v_sub_nc_u16 v143, v32, v34
	v_lshlrev_b32_sdwa v37, v36, v142 dst_sel:DWORD dst_unused:UNUSED_PAD src0_sel:DWORD src1_sel:BYTE_0
	v_lshlrev_b32_sdwa v38, v36, v143 dst_sel:DWORD dst_unused:UNUSED_PAD src0_sel:DWORD src1_sel:BYTE_0
	s_clause 0x7
	global_load_dwordx4 v[32:35], v37, s[12:13]
	global_load_dwordx4 v[52:55], v37, s[12:13] offset:16
	global_load_dwordx4 v[91:94], v37, s[12:13] offset:32
	;; [unrolled: 1-line block ×3, first 2 shown]
	global_load_dwordx4 v[99:102], v38, s[12:13]
	global_load_dwordx4 v[103:106], v38, s[12:13] offset:16
	global_load_dwordx4 v[107:110], v38, s[12:13] offset:32
	;; [unrolled: 1-line block ×3, first 2 shown]
	v_add_nc_u16 v37, v83, 0x82
	v_and_b32_e32 v38, 0xff, v37
	v_mul_lo_u16 v38, 0x4f, v38
	v_lshrrev_b16 v38, 10, v38
	v_mul_lo_u16 v38, v38, 13
	v_sub_nc_u16 v90, v37, v38
	v_lshlrev_b32_sdwa v36, v36, v90 dst_sel:DWORD dst_unused:UNUSED_PAD src0_sel:DWORD src1_sel:BYTE_0
	s_clause 0x3
	global_load_dwordx4 v[115:118], v36, s[12:13]
	global_load_dwordx4 v[119:122], v36, s[12:13] offset:16
	global_load_dwordx4 v[123:126], v36, s[12:13] offset:32
	;; [unrolled: 1-line block ×3, first 2 shown]
	s_waitcnt vmcnt(0) lgkmcnt(0)
	s_barrier
	buffer_gl0_inv
	v_mul_f64 v[36:37], v[16:17], v[34:35]
	v_mul_f64 v[38:39], v[24:25], v[54:55]
	;; [unrolled: 1-line block ×16, first 2 shown]
	v_fma_f64 v[36:37], v[64:65], v[32:33], v[36:37]
	v_fma_f64 v[38:39], v[68:69], v[52:53], v[38:39]
	;; [unrolled: 1-line block ×8, first 2 shown]
	v_fma_f64 v[32:33], v[16:17], v[32:33], -v[139:140]
	v_fma_f64 v[16:17], v[28:29], v[91:92], -v[93:94]
	;; [unrolled: 1-line block ×8, first 2 shown]
	v_mul_f64 v[107:108], v[60:61], v[117:118]
	v_mul_f64 v[109:110], v[2:3], v[117:118]
	;; [unrolled: 1-line block ×4, first 2 shown]
	v_add_f64 v[64:65], v[86:87], v[36:37]
	v_mul_f64 v[117:118], v[12:13], v[125:126]
	v_add_f64 v[50:51], v[38:39], v[44:45]
	v_add_f64 v[52:53], v[36:37], v[46:47]
	;; [unrolled: 1-line block ×3, first 2 shown]
	v_add_f64 v[76:77], v[46:47], -v[44:45]
	v_add_f64 v[54:55], v[34:35], v[42:43]
	v_add_f64 v[56:57], v[40:41], v[48:49]
	v_add_f64 v[88:89], v[44:45], -v[46:47]
	v_add_f64 v[91:92], v[40:41], -v[34:35]
	v_add_f64 v[66:67], v[32:33], -v[20:21]
	v_add_f64 v[93:94], v[48:49], -v[42:43]
	v_add_f64 v[72:73], v[28:29], -v[22:23]
	v_add_f64 v[68:69], v[24:25], -v[16:17]
	v_add_f64 v[95:96], v[34:35], -v[40:41]
	v_add_f64 v[74:75], v[26:27], -v[18:19]
	v_add_f64 v[97:98], v[42:43], -v[48:49]
	v_mul_f64 v[121:122], v[6:7], v[125:126]
	v_mul_f64 v[125:126], v[30:31], v[133:134]
	v_fma_f64 v[10:11], v[10:11], v[119:120], -v[113:114]
	v_add_f64 v[64:65], v[64:65], v[38:39]
	v_fma_f64 v[6:7], v[6:7], v[123:124], v[117:118]
	v_fma_f64 v[50:51], v[50:51], -0.5, v[86:87]
	v_fma_f64 v[52:53], v[52:53], -0.5, v[86:87]
	v_add_f64 v[86:87], v[38:39], -v[36:37]
	v_add_f64 v[70:71], v[70:71], v[34:35]
	v_fma_f64 v[54:55], v[54:55], -0.5, v[62:63]
	v_fma_f64 v[56:57], v[56:57], -0.5, v[62:63]
	v_add_f64 v[62:63], v[36:37], -v[38:39]
	v_add_f64 v[64:65], v[64:65], v[44:45]
	v_fma_f64 v[99:100], v[66:67], s[8:9], v[50:51]
	v_fma_f64 v[50:51], v[66:67], s[14:15], v[50:51]
	;; [unrolled: 1-line block ×8, first 2 shown]
	v_add_f64 v[62:63], v[62:63], v[76:77]
	v_add_f64 v[76:77], v[86:87], v[88:89]
	;; [unrolled: 1-line block ×6, first 2 shown]
	v_fma_f64 v[91:92], v[68:69], s[4:5], v[99:100]
	v_mul_f64 v[99:100], v[84:85], v[133:134]
	v_fma_f64 v[68:69], v[68:69], s[6:7], v[50:51]
	v_fma_f64 v[93:94], v[66:67], s[4:5], v[101:102]
	;; [unrolled: 1-line block ×8, first 2 shown]
	v_fma_f64 v[50:51], v[60:61], v[115:116], -v[109:110]
	v_fma_f64 v[54:55], v[4:5], v[119:120], v[111:112]
	v_fma_f64 v[2:3], v[12:13], v[123:124], -v[121:122]
	v_fma_f64 v[56:57], v[84:85], v[131:132], v[125:126]
	v_add_f64 v[70:71], v[70:71], v[48:49]
	v_and_b32_e32 v101, 0xffff, v127
	v_mov_b32_e32 v12, 3
	v_and_b32_e32 v13, 0xffff, v141
	v_lshlrev_b32_sdwa v61, v12, v143 dst_sel:DWORD dst_unused:UNUSED_PAD src0_sel:DWORD src1_sel:BYTE_0
	v_fma_f64 v[84:85], v[62:63], s[16:17], v[91:92]
	v_fma_f64 v[4:5], v[30:31], v[131:132], -v[99:100]
	v_fma_f64 v[62:63], v[62:63], s[16:17], v[68:69]
	v_fma_f64 v[68:69], v[76:77], s[16:17], v[93:94]
	;; [unrolled: 1-line block ×7, first 2 shown]
	v_mad_u32_u24 v30, 0x208, v101, 0
	v_lshlrev_b32_sdwa v31, v12, v142 dst_sel:DWORD dst_unused:UNUSED_PAD src0_sel:DWORD src1_sel:BYTE_0
	v_mad_u32_u24 v13, 0x208, v13, 0
	v_add3_u32 v60, v30, v31, v128
	v_add3_u32 v61, v13, v61, v128
	ds_write2_b64 v60, v[64:65], v[84:85] offset1:13
	ds_write2_b64 v60, v[68:69], v[66:67] offset0:26 offset1:39
	ds_write_b64 v60, v[62:63] offset:416
	ds_write2_b64 v61, v[70:71], v[76:77] offset1:13
	ds_write2_b64 v61, v[91:92], v[72:73] offset0:26 offset1:39
	ds_write_b64 v61, v[74:75] offset:416
	s_and_saveexec_b32 s1, s0
	s_cbranch_execz .LBB0_22
; %bb.21:
	v_add_f64 v[30:31], v[52:53], v[56:57]
	v_add_f64 v[62:63], v[54:55], v[6:7]
	v_add_f64 v[64:65], v[50:51], -v[4:5]
	v_add_f64 v[68:69], v[0:1], v[52:53]
	v_add_f64 v[66:67], v[10:11], -v[2:3]
	v_add_f64 v[70:71], v[6:7], -v[56:57]
	;; [unrolled: 1-line block ×4, first 2 shown]
	v_lshlrev_b32_sdwa v12, v12, v90 dst_sel:DWORD dst_unused:UNUSED_PAD src0_sel:DWORD src1_sel:BYTE_0
	v_add3_u32 v12, 0, v12, v128
	v_add_nc_u32_e32 v13, 0x1000, v12
	v_fma_f64 v[30:31], v[30:31], -0.5, v[0:1]
	v_fma_f64 v[0:1], v[62:63], -0.5, v[0:1]
	v_add_f64 v[62:63], v[54:55], -v[52:53]
	v_add_f64 v[68:69], v[68:69], v[54:55]
	v_fma_f64 v[76:77], v[66:67], s[8:9], v[30:31]
	v_fma_f64 v[84:85], v[64:65], s[8:9], v[0:1]
	;; [unrolled: 1-line block ×4, first 2 shown]
	v_add_f64 v[62:63], v[62:63], v[70:71]
	v_add_f64 v[70:71], v[72:73], v[74:75]
	;; [unrolled: 1-line block ×3, first 2 shown]
	v_fma_f64 v[72:73], v[64:65], s[6:7], v[76:77]
	v_fma_f64 v[74:75], v[66:67], s[4:5], v[84:85]
	;; [unrolled: 1-line block ×4, first 2 shown]
	v_add_f64 v[64:65], v[68:69], v[56:57]
	v_fma_f64 v[66:67], v[62:63], s[16:17], v[72:73]
	v_fma_f64 v[68:69], v[70:71], s[16:17], v[74:75]
	;; [unrolled: 1-line block ×4, first 2 shown]
	ds_write2_b64 v13, v[64:65], v[68:69] offset0:138 offset1:151
	ds_write2_b64 v13, v[30:31], v[66:67] offset0:164 offset1:177
	ds_write_b64 v12, v[0:1] offset:5616
.LBB0_22:
	s_or_b32 exec_lo, exec_lo, s1
	v_add_f64 v[0:1], v[24:25], v[16:17]
	v_add_f64 v[12:13], v[32:33], v[20:21]
	;; [unrolled: 1-line block ×5, first 2 shown]
	v_add_f64 v[36:37], v[36:37], -v[46:47]
	v_add_f64 v[38:39], v[38:39], -v[44:45]
	v_add_f64 v[44:45], v[14:15], v[28:29]
	v_add_f64 v[40:41], v[40:41], -v[48:49]
	v_add_f64 v[48:49], v[28:29], -v[26:27]
	;; [unrolled: 1-line block ×5, first 2 shown]
	s_waitcnt lgkmcnt(0)
	s_barrier
	buffer_gl0_inv
	v_fma_f64 v[0:1], v[0:1], -0.5, v[8:9]
	v_fma_f64 v[8:9], v[12:13], -0.5, v[8:9]
	v_add_f64 v[12:13], v[34:35], -v[42:43]
	v_fma_f64 v[30:31], v[30:31], -0.5, v[14:15]
	v_fma_f64 v[14:15], v[62:63], -0.5, v[14:15]
	v_add_f64 v[34:35], v[32:33], -v[24:25]
	v_add_f64 v[42:43], v[20:21], -v[16:17]
	;; [unrolled: 1-line block ×3, first 2 shown]
	v_add_f64 v[24:25], v[64:65], v[24:25]
	v_add_f64 v[26:27], v[44:45], v[26:27]
	v_add_f64 v[62:63], v[22:23], -v[18:19]
	v_add_f64 v[28:29], v[28:29], v[66:67]
	v_add_nc_u32_e32 v66, 0x800, v130
	v_add_nc_u32_e32 v67, 0xc00, v130
	v_fma_f64 v[44:45], v[36:37], s[14:15], v[0:1]
	v_fma_f64 v[0:1], v[36:37], s[8:9], v[0:1]
	;; [unrolled: 1-line block ×8, first 2 shown]
	v_add_f64 v[34:35], v[34:35], v[42:43]
	v_add_f64 v[24:25], v[24:25], v[16:17]
	;; [unrolled: 1-line block ×5, first 2 shown]
	v_add_nc_u32_e32 v16, 0x400, v130
	ds_read2_b64 v[16:19], v16 offset0:67 offset1:132
	v_fma_f64 v[44:45], v[38:39], s[6:7], v[44:45]
	v_fma_f64 v[0:1], v[38:39], s[4:5], v[0:1]
	;; [unrolled: 1-line block ×8, first 2 shown]
	v_add_nc_u32_e32 v68, 0x1000, v130
	v_add_f64 v[48:49], v[24:25], v[20:21]
	ds_read_b64 v[64:65], v129
	ds_read2_b64 v[12:15], v130 offset0:65 offset1:130
	v_add_f64 v[62:63], v[26:27], v[22:23]
	v_fma_f64 v[44:45], v[34:35], s[16:17], v[44:45]
	v_fma_f64 v[0:1], v[34:35], s[16:17], v[0:1]
	;; [unrolled: 1-line block ×8, first 2 shown]
	ds_read2_b64 v[28:31], v66 offset0:69 offset1:134
	ds_read2_b64 v[24:27], v67 offset0:71 offset1:136
	;; [unrolled: 1-line block ×3, first 2 shown]
	s_waitcnt lgkmcnt(0)
	s_barrier
	buffer_gl0_inv
	ds_write2_b64 v60, v[48:49], v[44:45] offset1:13
	ds_write2_b64 v60, v[34:35], v[8:9] offset0:26 offset1:39
	ds_write_b64 v60, v[0:1] offset:416
	ds_write2_b64 v61, v[62:63], v[32:33] offset1:13
	ds_write2_b64 v61, v[36:37], v[38:39] offset0:26 offset1:39
	ds_write_b64 v61, v[40:41] offset:416
	s_and_saveexec_b32 s1, s0
	s_cbranch_execz .LBB0_24
; %bb.23:
	v_add_f64 v[0:1], v[10:11], v[2:3]
	v_add_f64 v[8:9], v[50:51], v[4:5]
	;; [unrolled: 1-line block ×3, first 2 shown]
	v_add_f64 v[34:35], v[52:53], -v[56:57]
	v_add_f64 v[6:7], v[54:55], -v[6:7]
	s_mov_b32 s4, 0x134454ff
	s_mov_b32 s5, 0x3fee6f0e
	;; [unrolled: 1-line block ×4, first 2 shown]
	v_add_f64 v[36:37], v[50:51], -v[10:11]
	v_add_f64 v[38:39], v[4:5], -v[2:3]
	v_add_f64 v[40:41], v[10:11], -v[50:51]
	v_add_f64 v[42:43], v[2:3], -v[4:5]
	v_fma_f64 v[0:1], v[0:1], -0.5, v[58:59]
	v_fma_f64 v[8:9], v[8:9], -0.5, v[58:59]
	v_add_f64 v[10:11], v[32:33], v[10:11]
	v_add_f64 v[36:37], v[36:37], v[38:39]
	;; [unrolled: 1-line block ×3, first 2 shown]
	v_fma_f64 v[32:33], v[34:35], s[4:5], v[0:1]
	v_fma_f64 v[0:1], v[34:35], s[6:7], v[0:1]
	;; [unrolled: 1-line block ×4, first 2 shown]
	s_mov_b32 s4, 0x4755a5e
	s_mov_b32 s5, 0x3fe2cf23
	;; [unrolled: 1-line block ×4, first 2 shown]
	v_add_f64 v[2:3], v[10:11], v[2:3]
	v_fma_f64 v[10:11], v[6:7], s[4:5], v[32:33]
	v_fma_f64 v[0:1], v[6:7], s[6:7], v[0:1]
	;; [unrolled: 1-line block ×4, first 2 shown]
	s_mov_b32 s4, 0x372fe950
	s_mov_b32 s5, 0x3fd3c6ef
	v_add_f64 v[2:3], v[2:3], v[4:5]
	v_fma_f64 v[4:5], v[36:37], s[4:5], v[10:11]
	v_fma_f64 v[0:1], v[36:37], s[4:5], v[0:1]
	;; [unrolled: 1-line block ×4, first 2 shown]
	v_mov_b32_e32 v10, 3
	v_lshlrev_b32_sdwa v10, v10, v90 dst_sel:DWORD dst_unused:UNUSED_PAD src0_sel:DWORD src1_sel:BYTE_0
	v_add3_u32 v10, 0, v10, v128
	v_add_nc_u32_e32 v11, 0x1000, v10
	ds_write2_b64 v11, v[2:3], v[4:5] offset0:138 offset1:151
	ds_write2_b64 v11, v[6:7], v[8:9] offset0:164 offset1:177
	ds_write_b64 v10, v[0:1] offset:5616
.LBB0_24:
	s_or_b32 exec_lo, exec_lo, s1
	s_waitcnt lgkmcnt(0)
	s_barrier
	buffer_gl0_inv
	s_and_saveexec_b32 s0, vcc_lo
	s_cbranch_execz .LBB0_26
; %bb.25:
	v_mul_u32_u24_e32 v0, 10, v83
	v_mul_lo_u32 v68, s3, v81
	v_mul_lo_u32 v69, s2, v82
	v_mad_u64_u32 v[72:73], null, s2, v81, 0
	v_lshlrev_b32_e32 v4, 4, v0
	v_lshlrev_b64 v[86:87], 4, v[78:79]
	v_add_nc_u32_e32 v70, 0x800, v130
	v_add_nc_u32_e32 v74, 0x400, v130
	;; [unrolled: 1-line block ×3, first 2 shown]
	s_clause 0x9
	global_load_dwordx4 v[36:39], v4, s[12:13] offset:896
	global_load_dwordx4 v[32:35], v4, s[12:13] offset:912
	;; [unrolled: 1-line block ×10, first 2 shown]
	v_add3_u32 v73, v73, v69, v68
	v_add_nc_u32_e32 v82, 0x1000, v130
	ds_read2_b64 v[8:11], v130 offset0:65 offset1:130
	ds_read_b64 v[66:67], v129
	ds_read2_b64 v[68:71], v70 offset0:69 offset1:134
	v_lshlrev_b64 v[88:89], 4, v[72:73]
	ds_read2_b64 v[72:75], v74 offset0:67 offset1:132
	ds_read2_b64 v[76:79], v76 offset0:71 offset1:136
	;; [unrolled: 1-line block ×3, first 2 shown]
	v_mov_b32_e32 v81, 0
	s_mov_b32 s16, 0x43842ef
	s_mov_b32 s14, 0xbb3a28a1
	;; [unrolled: 1-line block ×3, first 2 shown]
	v_add_co_u32 v114, vcc_lo, s10, v88
	v_add_co_ci_u32_e32 v115, vcc_lo, s11, v89, vcc_lo
	v_lshlrev_b64 v[80:81], 4, v[80:81]
	v_add_co_u32 v124, vcc_lo, v114, v86
	v_add_co_ci_u32_e32 v125, vcc_lo, v115, v87, vcc_lo
	s_mov_b32 s20, 0xfd768dbf
	s_mov_b32 s17, 0xbfefac9e
	;; [unrolled: 1-line block ×23, first 2 shown]
	s_waitcnt vmcnt(9)
	v_mul_f64 v[88:89], v[28:29], v[36:37]
	s_waitcnt vmcnt(8)
	v_mul_f64 v[90:91], v[30:31], v[32:33]
	;; [unrolled: 2-line block ×4, first 2 shown]
	v_mul_f64 v[108:109], v[24:25], v[42:43]
	v_mul_f64 v[18:19], v[18:19], v[54:55]
	s_waitcnt vmcnt(3)
	v_mul_f64 v[104:105], v[12:13], v[44:45]
	v_mul_f64 v[86:87], v[12:13], v[46:47]
	v_mul_f64 v[102:103], v[26:27], v[48:49]
	s_waitcnt vmcnt(2)
	v_mul_f64 v[106:107], v[22:23], v[60:61]
	;; [unrolled: 4-line block ×3, first 2 shown]
	s_waitcnt vmcnt(0)
	v_mul_f64 v[118:119], v[20:21], v[4:5]
	v_mul_f64 v[120:121], v[14:15], v[2:3]
	;; [unrolled: 1-line block ×7, first 2 shown]
	v_add_co_u32 v12, vcc_lo, v124, v80
	v_add_co_ci_u32_e32 v13, vcc_lo, v125, v81, vcc_lo
	s_waitcnt lgkmcnt(3)
	v_fma_f64 v[24:25], v[70:71], v[34:35], v[90:91]
	s_waitcnt lgkmcnt(1)
	v_fma_f64 v[20:21], v[76:77], v[42:43], v[98:99]
	v_fma_f64 v[22:23], v[76:77], v[40:41], -v[108:109]
	v_fma_f64 v[34:35], v[74:75], v[52:53], -v[18:19]
	v_fma_f64 v[42:43], v[8:9], v[46:47], v[104:105]
	v_fma_f64 v[40:41], v[8:9], v[44:45], -v[86:87]
	v_fma_f64 v[16:17], v[78:79], v[50:51], v[102:103]
	v_fma_f64 v[28:29], v[68:69], v[38:39], v[88:89]
	v_fma_f64 v[18:19], v[78:79], v[48:49], -v[112:113]
	s_waitcnt lgkmcnt(0)
	v_fma_f64 v[14:15], v[84:85], v[62:63], v[106:107]
	v_fma_f64 v[2:3], v[10:11], v[2:3], v[116:117]
	;; [unrolled: 1-line block ×3, first 2 shown]
	v_fma_f64 v[0:1], v[10:11], v[0:1], -v[120:121]
	v_fma_f64 v[4:5], v[82:83], v[4:5], -v[122:123]
	;; [unrolled: 1-line block ×4, first 2 shown]
	v_fma_f64 v[32:33], v[74:75], v[54:55], v[96:97]
	v_fma_f64 v[36:37], v[72:73], v[58:59], v[100:101]
	v_fma_f64 v[38:39], v[72:73], v[56:57], -v[110:111]
	v_fma_f64 v[8:9], v[84:85], v[60:61], -v[114:115]
	v_add_co_u32 v48, vcc_lo, 0x800, v12
	v_add_co_ci_u32_e32 v49, vcc_lo, 0, v13, vcc_lo
	v_add_co_u32 v50, vcc_lo, 0x1000, v12
	v_add_f64 v[80:81], v[64:65], v[42:43]
	v_add_f64 v[78:79], v[66:67], v[40:41]
	v_add_f64 v[56:57], v[34:35], -v[22:23]
	v_add_f64 v[10:11], v[28:29], -v[24:25]
	v_add_f64 v[62:63], v[34:35], v[22:23]
	v_add_f64 v[52:53], v[42:43], -v[14:15]
	v_add_f64 v[72:73], v[28:29], v[24:25]
	;; [unrolled: 2-line block ×3, first 2 shown]
	v_add_f64 v[84:85], v[0:1], v[4:5]
	v_add_f64 v[86:87], v[0:1], -v[4:5]
	v_add_f64 v[54:55], v[30:31], -v[26:27]
	;; [unrolled: 1-line block ×5, first 2 shown]
	v_add_f64 v[70:71], v[40:41], v[8:9]
	v_add_f64 v[40:41], v[40:41], -v[8:9]
	v_add_f64 v[60:61], v[30:31], v[26:27]
	v_add_f64 v[68:69], v[38:39], v[18:19]
	;; [unrolled: 1-line block ×7, first 2 shown]
	v_mul_f64 v[100:101], v[56:57], s[12:13]
	v_mul_f64 v[90:91], v[10:11], s[16:17]
	;; [unrolled: 1-line block ×20, first 2 shown]
	v_add_f64 v[2:3], v[36:37], v[2:3]
	v_add_f64 v[0:1], v[38:39], v[0:1]
	v_mul_f64 v[128:129], v[58:59], s[12:13]
	v_mul_f64 v[132:133], v[44:45], s[22:23]
	;; [unrolled: 1-line block ×18, first 2 shown]
	s_mov_b32 s13, 0xbfed1bb4
	v_mul_f64 v[150:151], v[82:83], s[18:19]
	v_mul_f64 v[52:53], v[52:53], s[12:13]
	;; [unrolled: 1-line block ×3, first 2 shown]
	v_add_f64 v[0:1], v[34:35], v[0:1]
	v_add_f64 v[2:3], v[32:33], v[2:3]
	v_mul_f64 v[152:153], v[82:83], s[22:23]
	v_mul_f64 v[154:155], v[82:83], s[26:27]
	;; [unrolled: 1-line block ×9, first 2 shown]
	v_fma_f64 v[166:167], v[60:61], s[2:3], v[90:91]
	v_fma_f64 v[168:169], v[62:63], s[0:1], v[92:93]
	v_fma_f64 v[170:171], v[68:69], s[4:5], v[94:95]
	v_fma_f64 v[172:173], v[72:73], s[2:3], -v[98:99]
	v_fma_f64 v[174:175], v[74:75], s[0:1], -v[100:101]
	v_fma_f64 v[176:177], v[76:77], s[4:5], -v[102:103]
	v_fma_f64 v[90:91], v[60:61], s[2:3], -v[90:91]
	v_fma_f64 v[92:93], v[62:63], s[0:1], -v[92:93]
	v_fma_f64 v[94:95], v[68:69], s[4:5], -v[94:95]
	v_fma_f64 v[98:99], v[72:73], s[2:3], v[98:99]
	v_fma_f64 v[100:101], v[74:75], s[0:1], v[100:101]
	v_fma_f64 v[102:103], v[76:77], s[4:5], v[102:103]
	v_fma_f64 v[178:179], v[60:61], s[0:1], v[104:105]
	v_fma_f64 v[180:181], v[62:63], s[8:9], v[106:107]
	v_fma_f64 v[182:183], v[68:69], s[6:7], v[108:109]
	v_fma_f64 v[184:185], v[72:73], s[0:1], -v[112:113]
	v_fma_f64 v[186:187], v[74:75], s[8:9], -v[114:115]
	v_fma_f64 v[188:189], v[76:77], s[6:7], -v[116:117]
	v_fma_f64 v[104:105], v[60:61], s[0:1], -v[104:105]
	v_fma_f64 v[106:107], v[62:63], s[8:9], -v[106:107]
	v_fma_f64 v[108:109], v[68:69], s[6:7], -v[108:109]
	v_fma_f64 v[112:113], v[72:73], s[0:1], v[112:113]
	v_fma_f64 v[114:115], v[74:75], s[8:9], v[114:115]
	v_fma_f64 v[116:117], v[76:77], s[6:7], v[116:117]
	;; [unrolled: 12-line block ×4, first 2 shown]
	v_fma_f64 v[214:215], v[60:61], s[8:9], v[10:11]
	v_fma_f64 v[10:11], v[60:61], s[8:9], -v[10:11]
	v_fma_f64 v[60:61], v[62:63], s[4:5], v[44:45]
	v_fma_f64 v[44:45], v[62:63], s[4:5], -v[44:45]
	;; [unrolled: 2-line block ×3, first 2 shown]
	v_fma_f64 v[68:69], v[72:73], s[8:9], -v[54:55]
	v_fma_f64 v[54:55], v[72:73], s[8:9], v[54:55]
	v_fma_f64 v[72:73], v[74:75], s[4:5], -v[56:57]
	v_fma_f64 v[56:57], v[74:75], s[4:5], v[56:57]
	;; [unrolled: 2-line block ×3, first 2 shown]
	v_fma_f64 v[36:37], v[70:71], s[8:9], v[96:97]
	v_fma_f64 v[38:39], v[70:71], s[8:9], -v[96:97]
	v_fma_f64 v[76:77], v[70:71], s[4:5], v[110:111]
	v_fma_f64 v[96:97], v[70:71], s[4:5], -v[110:111]
	;; [unrolled: 2-line block ×4, first 2 shown]
	v_fma_f64 v[218:219], v[42:43], s[8:9], -v[142:143]
	v_fma_f64 v[142:143], v[42:43], s[8:9], v[142:143]
	v_fma_f64 v[220:221], v[42:43], s[4:5], -v[144:145]
	v_fma_f64 v[144:145], v[42:43], s[4:5], v[144:145]
	;; [unrolled: 2-line block ×4, first 2 shown]
	v_fma_f64 v[238:239], v[70:71], s[0:1], v[52:53]
	v_fma_f64 v[52:53], v[70:71], s[0:1], -v[52:53]
	v_fma_f64 v[70:71], v[42:43], s[0:1], -v[40:41]
	v_fma_f64 v[40:41], v[42:43], s[0:1], v[40:41]
	v_add_f64 v[0:1], v[30:31], v[0:1]
	v_add_f64 v[2:3], v[28:29], v[2:3]
	v_fma_f64 v[226:227], v[84:85], s[6:7], v[150:151]
	v_fma_f64 v[150:151], v[84:85], s[6:7], -v[150:151]
	v_fma_f64 v[228:229], v[84:85], s[2:3], v[152:153]
	v_fma_f64 v[152:153], v[84:85], s[2:3], -v[152:153]
	v_fma_f64 v[32:33], v[84:85], s[8:9], v[154:155]
	v_fma_f64 v[34:35], v[84:85], s[8:9], -v[154:155]
	v_fma_f64 v[154:155], v[84:85], s[4:5], v[156:157]
	v_fma_f64 v[156:157], v[84:85], s[4:5], -v[156:157]
	v_fma_f64 v[230:231], v[88:89], s[6:7], -v[158:159]
	v_fma_f64 v[158:159], v[88:89], s[6:7], v[158:159]
	v_fma_f64 v[232:233], v[88:89], s[2:3], -v[160:161]
	v_fma_f64 v[160:161], v[88:89], s[2:3], v[160:161]
	;; [unrolled: 2-line block ×4, first 2 shown]
	v_fma_f64 v[42:43], v[84:85], s[0:1], v[82:83]
	v_fma_f64 v[82:83], v[84:85], s[0:1], -v[82:83]
	v_fma_f64 v[84:85], v[88:89], s[0:1], -v[86:87]
	v_fma_f64 v[86:87], v[88:89], s[0:1], v[86:87]
	v_add_f64 v[28:29], v[66:67], v[36:37]
	v_add_f64 v[30:31], v[64:65], v[218:219]
	;; [unrolled: 1-line block ×110, first 2 shown]
	v_add_co_ci_u32_e32 v51, vcc_lo, 0, v13, vcc_lo
	v_add_co_u32 v14, vcc_lo, 0x1800, v12
	v_add_co_ci_u32_e32 v15, vcc_lo, 0, v13, vcc_lo
	v_add_co_u32 v52, vcc_lo, 0x2000, v12
	;; [unrolled: 2-line block ×3, first 2 shown]
	v_add_co_ci_u32_e32 v55, vcc_lo, 0, v13, vcc_lo
	global_store_dwordx4 v[12:13], v[32:35], off offset:1040
	global_store_dwordx4 v[48:49], v[28:31], off offset:1072
	;; [unrolled: 1-line block ×9, first 2 shown]
	global_store_dwordx4 v[12:13], v[8:11], off
	global_store_dwordx4 v[54:55], v[36:39], off offset:160
.LBB0_26:
	s_endpgm
	.section	.rodata,"a",@progbits
	.p2align	6, 0x0
	.amdhsa_kernel fft_rtc_back_len715_factors_13_5_11_wgs_195_tpt_65_halfLds_dp_op_CI_CI_unitstride_sbrr_dirReg
		.amdhsa_group_segment_fixed_size 0
		.amdhsa_private_segment_fixed_size 0
		.amdhsa_kernarg_size 104
		.amdhsa_user_sgpr_count 6
		.amdhsa_user_sgpr_private_segment_buffer 1
		.amdhsa_user_sgpr_dispatch_ptr 0
		.amdhsa_user_sgpr_queue_ptr 0
		.amdhsa_user_sgpr_kernarg_segment_ptr 1
		.amdhsa_user_sgpr_dispatch_id 0
		.amdhsa_user_sgpr_flat_scratch_init 0
		.amdhsa_user_sgpr_private_segment_size 0
		.amdhsa_wavefront_size32 1
		.amdhsa_uses_dynamic_stack 0
		.amdhsa_system_sgpr_private_segment_wavefront_offset 0
		.amdhsa_system_sgpr_workgroup_id_x 1
		.amdhsa_system_sgpr_workgroup_id_y 0
		.amdhsa_system_sgpr_workgroup_id_z 0
		.amdhsa_system_sgpr_workgroup_info 0
		.amdhsa_system_vgpr_workitem_id 0
		.amdhsa_next_free_vgpr 240
		.amdhsa_next_free_sgpr 46
		.amdhsa_reserve_vcc 1
		.amdhsa_reserve_flat_scratch 0
		.amdhsa_float_round_mode_32 0
		.amdhsa_float_round_mode_16_64 0
		.amdhsa_float_denorm_mode_32 3
		.amdhsa_float_denorm_mode_16_64 3
		.amdhsa_dx10_clamp 1
		.amdhsa_ieee_mode 1
		.amdhsa_fp16_overflow 0
		.amdhsa_workgroup_processor_mode 1
		.amdhsa_memory_ordered 1
		.amdhsa_forward_progress 0
		.amdhsa_shared_vgpr_count 0
		.amdhsa_exception_fp_ieee_invalid_op 0
		.amdhsa_exception_fp_denorm_src 0
		.amdhsa_exception_fp_ieee_div_zero 0
		.amdhsa_exception_fp_ieee_overflow 0
		.amdhsa_exception_fp_ieee_underflow 0
		.amdhsa_exception_fp_ieee_inexact 0
		.amdhsa_exception_int_div_zero 0
	.end_amdhsa_kernel
	.text
.Lfunc_end0:
	.size	fft_rtc_back_len715_factors_13_5_11_wgs_195_tpt_65_halfLds_dp_op_CI_CI_unitstride_sbrr_dirReg, .Lfunc_end0-fft_rtc_back_len715_factors_13_5_11_wgs_195_tpt_65_halfLds_dp_op_CI_CI_unitstride_sbrr_dirReg
                                        ; -- End function
	.section	.AMDGPU.csdata,"",@progbits
; Kernel info:
; codeLenInByte = 12060
; NumSgprs: 48
; NumVgprs: 240
; ScratchSize: 0
; MemoryBound: 1
; FloatMode: 240
; IeeeMode: 1
; LDSByteSize: 0 bytes/workgroup (compile time only)
; SGPRBlocks: 5
; VGPRBlocks: 29
; NumSGPRsForWavesPerEU: 48
; NumVGPRsForWavesPerEU: 240
; Occupancy: 4
; WaveLimiterHint : 1
; COMPUTE_PGM_RSRC2:SCRATCH_EN: 0
; COMPUTE_PGM_RSRC2:USER_SGPR: 6
; COMPUTE_PGM_RSRC2:TRAP_HANDLER: 0
; COMPUTE_PGM_RSRC2:TGID_X_EN: 1
; COMPUTE_PGM_RSRC2:TGID_Y_EN: 0
; COMPUTE_PGM_RSRC2:TGID_Z_EN: 0
; COMPUTE_PGM_RSRC2:TIDIG_COMP_CNT: 0
	.text
	.p2alignl 6, 3214868480
	.fill 48, 4, 3214868480
	.type	__hip_cuid_e4cfd0941ea099e3,@object ; @__hip_cuid_e4cfd0941ea099e3
	.section	.bss,"aw",@nobits
	.globl	__hip_cuid_e4cfd0941ea099e3
__hip_cuid_e4cfd0941ea099e3:
	.byte	0                               ; 0x0
	.size	__hip_cuid_e4cfd0941ea099e3, 1

	.ident	"AMD clang version 19.0.0git (https://github.com/RadeonOpenCompute/llvm-project roc-6.4.0 25133 c7fe45cf4b819c5991fe208aaa96edf142730f1d)"
	.section	".note.GNU-stack","",@progbits
	.addrsig
	.addrsig_sym __hip_cuid_e4cfd0941ea099e3
	.amdgpu_metadata
---
amdhsa.kernels:
  - .args:
      - .actual_access:  read_only
        .address_space:  global
        .offset:         0
        .size:           8
        .value_kind:     global_buffer
      - .offset:         8
        .size:           8
        .value_kind:     by_value
      - .actual_access:  read_only
        .address_space:  global
        .offset:         16
        .size:           8
        .value_kind:     global_buffer
      - .actual_access:  read_only
        .address_space:  global
        .offset:         24
        .size:           8
        .value_kind:     global_buffer
      - .actual_access:  read_only
        .address_space:  global
        .offset:         32
        .size:           8
        .value_kind:     global_buffer
      - .offset:         40
        .size:           8
        .value_kind:     by_value
      - .actual_access:  read_only
        .address_space:  global
        .offset:         48
        .size:           8
        .value_kind:     global_buffer
      - .actual_access:  read_only
        .address_space:  global
        .offset:         56
        .size:           8
        .value_kind:     global_buffer
      - .offset:         64
        .size:           4
        .value_kind:     by_value
      - .actual_access:  read_only
        .address_space:  global
        .offset:         72
        .size:           8
        .value_kind:     global_buffer
      - .actual_access:  read_only
        .address_space:  global
        .offset:         80
        .size:           8
        .value_kind:     global_buffer
      - .actual_access:  read_only
        .address_space:  global
        .offset:         88
        .size:           8
        .value_kind:     global_buffer
      - .actual_access:  write_only
        .address_space:  global
        .offset:         96
        .size:           8
        .value_kind:     global_buffer
    .group_segment_fixed_size: 0
    .kernarg_segment_align: 8
    .kernarg_segment_size: 104
    .language:       OpenCL C
    .language_version:
      - 2
      - 0
    .max_flat_workgroup_size: 195
    .name:           fft_rtc_back_len715_factors_13_5_11_wgs_195_tpt_65_halfLds_dp_op_CI_CI_unitstride_sbrr_dirReg
    .private_segment_fixed_size: 0
    .sgpr_count:     48
    .sgpr_spill_count: 0
    .symbol:         fft_rtc_back_len715_factors_13_5_11_wgs_195_tpt_65_halfLds_dp_op_CI_CI_unitstride_sbrr_dirReg.kd
    .uniform_work_group_size: 1
    .uses_dynamic_stack: false
    .vgpr_count:     240
    .vgpr_spill_count: 0
    .wavefront_size: 32
    .workgroup_processor_mode: 1
amdhsa.target:   amdgcn-amd-amdhsa--gfx1030
amdhsa.version:
  - 1
  - 2
...

	.end_amdgpu_metadata
